;; amdgpu-corpus repo=ROCm/rocFFT kind=compiled arch=gfx1030 opt=O3
	.text
	.amdgcn_target "amdgcn-amd-amdhsa--gfx1030"
	.amdhsa_code_object_version 6
	.protected	fft_rtc_fwd_len160_factors_16_10_wgs_256_tpt_16_halfLds_half_ip_CI_unitstride_sbrr_dirReg ; -- Begin function fft_rtc_fwd_len160_factors_16_10_wgs_256_tpt_16_halfLds_half_ip_CI_unitstride_sbrr_dirReg
	.globl	fft_rtc_fwd_len160_factors_16_10_wgs_256_tpt_16_halfLds_half_ip_CI_unitstride_sbrr_dirReg
	.p2align	8
	.type	fft_rtc_fwd_len160_factors_16_10_wgs_256_tpt_16_halfLds_half_ip_CI_unitstride_sbrr_dirReg,@function
fft_rtc_fwd_len160_factors_16_10_wgs_256_tpt_16_halfLds_half_ip_CI_unitstride_sbrr_dirReg: ; @fft_rtc_fwd_len160_factors_16_10_wgs_256_tpt_16_halfLds_half_ip_CI_unitstride_sbrr_dirReg
; %bb.0:
	s_clause 0x2
	s_load_dwordx4 s[8:11], s[4:5], 0x0
	s_load_dwordx2 s[2:3], s[4:5], 0x50
	s_load_dwordx2 s[12:13], s[4:5], 0x18
	v_lshrrev_b32_e32 v9, 4, v0
	v_mov_b32_e32 v3, 0
	v_mov_b32_e32 v1, 0
	;; [unrolled: 1-line block ×3, first 2 shown]
	v_lshl_or_b32 v5, s6, 4, v9
	v_mov_b32_e32 v6, v3
	s_waitcnt lgkmcnt(0)
	v_cmp_lt_u64_e64 s0, s[10:11], 2
	s_and_b32 vcc_lo, exec_lo, s0
	s_cbranch_vccnz .LBB0_8
; %bb.1:
	s_load_dwordx2 s[0:1], s[4:5], 0x10
	v_mov_b32_e32 v1, 0
	s_add_u32 s6, s12, 8
	v_mov_b32_e32 v2, 0
	s_addc_u32 s7, s13, 0
	s_mov_b64 s[16:17], 1
	s_waitcnt lgkmcnt(0)
	s_add_u32 s14, s0, 8
	s_addc_u32 s15, s1, 0
.LBB0_2:                                ; =>This Inner Loop Header: Depth=1
	s_load_dwordx2 s[18:19], s[14:15], 0x0
                                        ; implicit-def: $vgpr7_vgpr8
	s_mov_b32 s0, exec_lo
	s_waitcnt lgkmcnt(0)
	v_or_b32_e32 v4, s19, v6
	v_cmpx_ne_u64_e32 0, v[3:4]
	s_xor_b32 s1, exec_lo, s0
	s_cbranch_execz .LBB0_4
; %bb.3:                                ;   in Loop: Header=BB0_2 Depth=1
	v_cvt_f32_u32_e32 v4, s18
	v_cvt_f32_u32_e32 v7, s19
	s_sub_u32 s0, 0, s18
	s_subb_u32 s20, 0, s19
	v_fmac_f32_e32 v4, 0x4f800000, v7
	v_rcp_f32_e32 v4, v4
	v_mul_f32_e32 v4, 0x5f7ffffc, v4
	v_mul_f32_e32 v7, 0x2f800000, v4
	v_trunc_f32_e32 v7, v7
	v_fmac_f32_e32 v4, 0xcf800000, v7
	v_cvt_u32_f32_e32 v7, v7
	v_cvt_u32_f32_e32 v4, v4
	v_mul_lo_u32 v8, s0, v7
	v_mul_hi_u32 v10, s0, v4
	v_mul_lo_u32 v11, s20, v4
	v_add_nc_u32_e32 v8, v10, v8
	v_mul_lo_u32 v10, s0, v4
	v_add_nc_u32_e32 v8, v8, v11
	v_mul_hi_u32 v11, v4, v10
	v_mul_lo_u32 v12, v4, v8
	v_mul_hi_u32 v13, v4, v8
	v_mul_hi_u32 v14, v7, v10
	v_mul_lo_u32 v10, v7, v10
	v_mul_hi_u32 v15, v7, v8
	v_mul_lo_u32 v8, v7, v8
	v_add_co_u32 v11, vcc_lo, v11, v12
	v_add_co_ci_u32_e32 v12, vcc_lo, 0, v13, vcc_lo
	v_add_co_u32 v10, vcc_lo, v11, v10
	v_add_co_ci_u32_e32 v10, vcc_lo, v12, v14, vcc_lo
	v_add_co_ci_u32_e32 v11, vcc_lo, 0, v15, vcc_lo
	v_add_co_u32 v8, vcc_lo, v10, v8
	v_add_co_ci_u32_e32 v10, vcc_lo, 0, v11, vcc_lo
	v_add_co_u32 v4, vcc_lo, v4, v8
	v_add_co_ci_u32_e32 v7, vcc_lo, v7, v10, vcc_lo
	v_mul_hi_u32 v8, s0, v4
	v_mul_lo_u32 v11, s20, v4
	v_mul_lo_u32 v10, s0, v7
	v_add_nc_u32_e32 v8, v8, v10
	v_mul_lo_u32 v10, s0, v4
	v_add_nc_u32_e32 v8, v8, v11
	v_mul_hi_u32 v11, v4, v10
	v_mul_lo_u32 v12, v4, v8
	v_mul_hi_u32 v13, v4, v8
	v_mul_hi_u32 v14, v7, v10
	v_mul_lo_u32 v10, v7, v10
	v_mul_hi_u32 v15, v7, v8
	v_mul_lo_u32 v8, v7, v8
	v_add_co_u32 v11, vcc_lo, v11, v12
	v_add_co_ci_u32_e32 v12, vcc_lo, 0, v13, vcc_lo
	v_add_co_u32 v10, vcc_lo, v11, v10
	v_add_co_ci_u32_e32 v10, vcc_lo, v12, v14, vcc_lo
	v_add_co_ci_u32_e32 v11, vcc_lo, 0, v15, vcc_lo
	v_add_co_u32 v8, vcc_lo, v10, v8
	v_add_co_ci_u32_e32 v10, vcc_lo, 0, v11, vcc_lo
	v_add_co_u32 v4, vcc_lo, v4, v8
	v_add_co_ci_u32_e32 v12, vcc_lo, v7, v10, vcc_lo
	v_mul_hi_u32 v14, v5, v4
	v_mad_u64_u32 v[10:11], null, v6, v4, 0
	v_mad_u64_u32 v[7:8], null, v5, v12, 0
	;; [unrolled: 1-line block ×3, first 2 shown]
	v_add_co_u32 v4, vcc_lo, v14, v7
	v_add_co_ci_u32_e32 v7, vcc_lo, 0, v8, vcc_lo
	v_add_co_u32 v4, vcc_lo, v4, v10
	v_add_co_ci_u32_e32 v4, vcc_lo, v7, v11, vcc_lo
	v_add_co_ci_u32_e32 v7, vcc_lo, 0, v13, vcc_lo
	v_add_co_u32 v4, vcc_lo, v4, v12
	v_add_co_ci_u32_e32 v10, vcc_lo, 0, v7, vcc_lo
	v_mul_lo_u32 v11, s19, v4
	v_mad_u64_u32 v[7:8], null, s18, v4, 0
	v_mul_lo_u32 v12, s18, v10
	v_sub_co_u32 v7, vcc_lo, v5, v7
	v_add3_u32 v8, v8, v12, v11
	v_sub_nc_u32_e32 v11, v6, v8
	v_subrev_co_ci_u32_e64 v11, s0, s19, v11, vcc_lo
	v_add_co_u32 v12, s0, v4, 2
	v_add_co_ci_u32_e64 v13, s0, 0, v10, s0
	v_sub_co_u32 v14, s0, v7, s18
	v_sub_co_ci_u32_e32 v8, vcc_lo, v6, v8, vcc_lo
	v_subrev_co_ci_u32_e64 v11, s0, 0, v11, s0
	v_cmp_le_u32_e32 vcc_lo, s18, v14
	v_cmp_eq_u32_e64 s0, s19, v8
	v_cndmask_b32_e64 v14, 0, -1, vcc_lo
	v_cmp_le_u32_e32 vcc_lo, s19, v11
	v_cndmask_b32_e64 v15, 0, -1, vcc_lo
	v_cmp_le_u32_e32 vcc_lo, s18, v7
	;; [unrolled: 2-line block ×3, first 2 shown]
	v_cndmask_b32_e64 v16, 0, -1, vcc_lo
	v_cmp_eq_u32_e32 vcc_lo, s19, v11
	v_cndmask_b32_e64 v7, v16, v7, s0
	v_cndmask_b32_e32 v11, v15, v14, vcc_lo
	v_add_co_u32 v14, vcc_lo, v4, 1
	v_add_co_ci_u32_e32 v15, vcc_lo, 0, v10, vcc_lo
	v_cmp_ne_u32_e32 vcc_lo, 0, v11
	v_cndmask_b32_e32 v8, v15, v13, vcc_lo
	v_cndmask_b32_e32 v11, v14, v12, vcc_lo
	v_cmp_ne_u32_e32 vcc_lo, 0, v7
	v_cndmask_b32_e32 v8, v10, v8, vcc_lo
	v_cndmask_b32_e32 v7, v4, v11, vcc_lo
.LBB0_4:                                ;   in Loop: Header=BB0_2 Depth=1
	s_andn2_saveexec_b32 s0, s1
	s_cbranch_execz .LBB0_6
; %bb.5:                                ;   in Loop: Header=BB0_2 Depth=1
	v_cvt_f32_u32_e32 v4, s18
	s_sub_i32 s1, 0, s18
	v_rcp_iflag_f32_e32 v4, v4
	v_mul_f32_e32 v4, 0x4f7ffffe, v4
	v_cvt_u32_f32_e32 v4, v4
	v_mul_lo_u32 v7, s1, v4
	v_mul_hi_u32 v7, v4, v7
	v_add_nc_u32_e32 v4, v4, v7
	v_mul_hi_u32 v4, v5, v4
	v_mul_lo_u32 v7, v4, s18
	v_add_nc_u32_e32 v8, 1, v4
	v_sub_nc_u32_e32 v7, v5, v7
	v_subrev_nc_u32_e32 v10, s18, v7
	v_cmp_le_u32_e32 vcc_lo, s18, v7
	v_cndmask_b32_e32 v7, v7, v10, vcc_lo
	v_cndmask_b32_e32 v4, v4, v8, vcc_lo
	v_cmp_le_u32_e32 vcc_lo, s18, v7
	v_add_nc_u32_e32 v8, 1, v4
	v_cndmask_b32_e32 v7, v4, v8, vcc_lo
	v_mov_b32_e32 v8, v3
.LBB0_6:                                ;   in Loop: Header=BB0_2 Depth=1
	s_or_b32 exec_lo, exec_lo, s0
	s_load_dwordx2 s[0:1], s[6:7], 0x0
	v_mul_lo_u32 v4, v8, s18
	v_mul_lo_u32 v12, v7, s19
	v_mad_u64_u32 v[10:11], null, v7, s18, 0
	s_add_u32 s16, s16, 1
	s_addc_u32 s17, s17, 0
	s_add_u32 s6, s6, 8
	s_addc_u32 s7, s7, 0
	;; [unrolled: 2-line block ×3, first 2 shown]
	v_add3_u32 v4, v11, v12, v4
	v_sub_co_u32 v5, vcc_lo, v5, v10
	v_sub_co_ci_u32_e32 v4, vcc_lo, v6, v4, vcc_lo
	s_waitcnt lgkmcnt(0)
	v_mul_lo_u32 v6, s1, v5
	v_mul_lo_u32 v4, s0, v4
	v_mad_u64_u32 v[1:2], null, s0, v5, v[1:2]
	v_cmp_ge_u64_e64 s0, s[16:17], s[10:11]
	s_and_b32 vcc_lo, exec_lo, s0
	v_add3_u32 v2, v6, v2, v4
	s_cbranch_vccnz .LBB0_9
; %bb.7:                                ;   in Loop: Header=BB0_2 Depth=1
	v_mov_b32_e32 v5, v7
	v_mov_b32_e32 v6, v8
	s_branch .LBB0_2
.LBB0_8:
	v_mov_b32_e32 v8, v6
	v_mov_b32_e32 v7, v5
.LBB0_9:
	s_lshl_b64 s[0:1], s[10:11], 3
	v_and_b32_e32 v4, 15, v0
	s_add_u32 s0, s12, s0
	s_addc_u32 s1, s13, s1
	v_mov_b32_e32 v5, 0
	s_load_dwordx2 s[0:1], s[0:1], 0x0
	s_load_dwordx2 s[4:5], s[4:5], 0x20
	v_mov_b32_e32 v3, 0
	v_mov_b32_e32 v11, 0
	;; [unrolled: 1-line block ×14, first 2 shown]
                                        ; implicit-def: $vgpr33
                                        ; implicit-def: $vgpr26
                                        ; implicit-def: $vgpr35
                                        ; implicit-def: $vgpr29
                                        ; implicit-def: $vgpr25
                                        ; implicit-def: $vgpr36
                                        ; implicit-def: $vgpr22
                                        ; implicit-def: $vgpr32
                                        ; implicit-def: $vgpr28
                                        ; implicit-def: $vgpr34
                                        ; implicit-def: $vgpr31
                                        ; implicit-def: $vgpr30
                                        ; implicit-def: $vgpr27
	s_waitcnt lgkmcnt(0)
	v_mul_lo_u32 v10, s0, v8
	v_mul_lo_u32 v19, s1, v7
	v_mad_u64_u32 v[0:1], null, s0, v7, v[1:2]
	v_cmp_gt_u64_e32 vcc_lo, s[4:5], v[7:8]
	v_mov_b32_e32 v2, 0
	v_mov_b32_e32 v8, 0
                                        ; implicit-def: $vgpr7
	v_add3_u32 v1, v19, v1, v10
                                        ; implicit-def: $vgpr10
                                        ; implicit-def: $vgpr19
	s_and_saveexec_b32 s1, vcc_lo
	s_cbranch_execz .LBB0_13
; %bb.10:
	v_cmp_gt_u32_e64 s0, 10, v4
	v_mov_b32_e32 v8, 0
	v_mov_b32_e32 v18, 0
	;; [unrolled: 1-line block ×16, first 2 shown]
                                        ; implicit-def: $vgpr27
                                        ; implicit-def: $vgpr30
                                        ; implicit-def: $vgpr31
                                        ; implicit-def: $vgpr34
                                        ; implicit-def: $vgpr28
                                        ; implicit-def: $vgpr32
                                        ; implicit-def: $vgpr22
                                        ; implicit-def: $vgpr36
                                        ; implicit-def: $vgpr25
                                        ; implicit-def: $vgpr29
                                        ; implicit-def: $vgpr19
                                        ; implicit-def: $vgpr35
                                        ; implicit-def: $vgpr26
                                        ; implicit-def: $vgpr33
                                        ; implicit-def: $vgpr7
                                        ; implicit-def: $vgpr10
	s_and_saveexec_b32 s4, s0
	s_cbranch_execz .LBB0_12
; %bb.11:
	v_lshlrev_b64 v[2:3], 2, v[0:1]
	v_lshlrev_b32_e32 v5, 2, v4
	v_add_co_u32 v2, s0, s2, v2
	v_add_co_ci_u32_e64 v3, s0, s3, v3, s0
	v_add_co_u32 v5, s0, v2, v5
	v_add_co_ci_u32_e64 v6, s0, 0, v3, s0
	s_clause 0xf
	global_load_dword v11, v[5:6], off
	global_load_dword v13, v[5:6], off offset:40
	global_load_dword v15, v[5:6], off offset:80
	;; [unrolled: 1-line block ×15, first 2 shown]
	s_waitcnt vmcnt(15)
	v_lshrrev_b32_e32 v5, 16, v11
	s_waitcnt vmcnt(14)
	v_lshrrev_b32_e32 v23, 16, v13
	;; [unrolled: 2-line block ×16, first 2 shown]
.LBB0_12:
	s_or_b32 exec_lo, exec_lo, s4
	v_mov_b32_e32 v3, v4
.LBB0_13:
	s_or_b32 exec_lo, exec_lo, s1
	v_sub_f16_e32 v37, v15, v19
	v_mul_u32_u24_e32 v44, 0xa0, v9
	v_sub_f16_e32 v26, v13, v26
	v_sub_f16_e32 v33, v23, v33
	;; [unrolled: 1-line block ×3, first 2 shown]
	v_fma_f16 v9, v15, 2.0, -v37
	v_sub_f16_e32 v15, v16, v31
	v_sub_f16_e32 v31, v24, v34
	;; [unrolled: 1-line block ×5, first 2 shown]
	v_fma_f16 v16, v16, 2.0, -v15
	v_sub_f16_e32 v22, v6, v36
	v_fma_f16 v34, v24, 2.0, -v31
	v_fma_f16 v13, v13, 2.0, -v26
	;; [unrolled: 1-line block ×4, first 2 shown]
	v_sub_f16_e32 v25, v12, v25
	v_sub_f16_e32 v27, v8, v27
	;; [unrolled: 1-line block ×3, first 2 shown]
	v_fma_f16 v21, v21, 2.0, -v32
	v_sub_f16_e32 v24, v9, v16
	v_sub_f16_e32 v16, v37, v31
	v_fma_f16 v20, v20, 2.0, -v35
	v_sub_f16_e32 v29, v17, v29
	v_fma_f16 v12, v12, 2.0, -v25
	v_fma_f16 v38, v8, 2.0, -v27
	;; [unrolled: 1-line block ×3, first 2 shown]
	v_add_f16_e32 v15, v35, v15
	v_sub_f16_e32 v14, v13, v14
	v_sub_f16_e32 v31, v23, v21
	v_fma_f16 v21, v37, 2.0, -v16
	v_sub_f16_e32 v37, v26, v32
	v_sub_f16_e32 v36, v25, v36
	v_fma_f16 v17, v17, 2.0, -v29
	v_sub_f16_e32 v30, v20, v34
	v_fma_f16 v34, v35, 2.0, -v15
	v_fma_f16 v8, v13, 2.0, -v14
	v_add_f16_e32 v13, v33, v28
	v_fma_f16 v35, v26, 2.0, -v37
	v_sub_f16_e32 v38, v12, v38
	v_add_f16_e32 v41, v29, v27
	v_fma_f16 v27, v25, 2.0, -v36
	v_sub_f16_e32 v18, v17, v18
	v_fma_f16 v33, v33, 2.0, -v13
	v_fma_f16 v12, v12, 2.0, -v38
	;; [unrolled: 1-line block ×3, first 2 shown]
	v_mul_f16_e32 v25, 0x39a8, v21
	v_fmamk_f16 v21, v27, 0xb9a8, v35
	v_fma_f16 v32, v23, 2.0, -v31
	v_mul_f16_e32 v40, 0x39a8, v34
	v_fmamk_f16 v23, v28, 0xb9a8, v33
	v_mul_f16_e32 v43, 0x39a8, v15
	v_sub_f16_e32 v26, v8, v12
	v_fmac_f16_e32 v21, 0xb9a8, v28
	v_fmamk_f16 v28, v36, 0x39a8, v37
	v_fmamk_f16 v34, v41, 0x39a8, v13
	v_sub_f16_e32 v12, v14, v18
	v_add_f16_e32 v15, v31, v38
	v_fma_f16 v17, v17, 2.0, -v18
	v_mul_f16_e32 v39, 0x39a8, v16
	v_fmac_f16_e32 v23, 0x39a8, v27
	v_fmac_f16_e32 v28, 0xb9a8, v41
	;; [unrolled: 1-line block ×3, first 2 shown]
	v_fma_f16 v14, v14, 2.0, -v12
	v_fma_f16 v16, v31, 2.0, -v15
	v_sub_f16_e32 v42, v32, v17
	v_fma_f16 v27, v35, 2.0, -v21
	v_fma_f16 v33, v33, 2.0, -v23
	;; [unrolled: 1-line block ×4, first 2 shown]
	v_mul_f16_e32 v35, 0x39a8, v14
	v_mul_f16_e32 v38, 0x39a8, v16
	;; [unrolled: 1-line block ×4, first 2 shown]
	v_cmp_gt_u32_e64 s0, 10, v4
	v_lshlrev_b32_e32 v29, 1, v44
	s_and_saveexec_b32 s1, s0
	s_cbranch_execz .LBB0_15
; %bb.14:
	v_sub_f16_e32 v7, v11, v7
	v_fma_f16 v2, v2, 2.0, -v19
	v_fma_f16 v9, v9, 2.0, -v24
	v_fma_f16 v8, v8, 2.0, -v26
	v_lshlrev_b32_e32 v15, 5, v4
	v_sub_f16_e32 v12, v7, v22
	v_fma_f16 v11, v11, 2.0, -v7
	v_add3_u32 v15, 0, v15, v29
	v_fma_f16 v7, v7, 2.0, -v12
	v_add_f16_e32 v13, v12, v39
	v_sub_f16_e32 v2, v11, v2
	v_sub_f16_e32 v14, v7, v25
	;; [unrolled: 1-line block ×4, first 2 shown]
	v_fma_f16 v11, v11, 2.0, -v2
	v_sub_f16_e32 v14, v14, v40
	v_fma_f16 v12, v12, 2.0, -v13
	v_fma_f16 v2, v2, 2.0, -v16
	v_sub_f16_e32 v9, v11, v9
	v_fmamk_f16 v17, v28, 0x3b64, v13
	v_fma_f16 v7, v7, 2.0, -v14
	v_fmamk_f16 v44, v31, 0xb61f, v12
	v_sub_f16_e32 v46, v2, v35
	v_fma_f16 v11, v11, 2.0, -v9
	v_add_f16_e32 v18, v16, v37
	v_fmamk_f16 v48, v27, 0xbb64, v7
	v_fmamk_f16 v45, v21, 0x361f, v14
	v_fmac_f16_e32 v44, 0xbb64, v36
	v_sub_f16_e32 v46, v46, v38
	v_sub_f16_e32 v8, v11, v8
	v_fmac_f16_e32 v48, 0xb61f, v33
	v_fmac_f16_e32 v17, 0xb61f, v34
	v_sub_f16_e32 v18, v18, v41
	v_sub_f16_e32 v47, v9, v42
	v_fmac_f16_e32 v45, 0xbb64, v23
	v_fma_f16 v12, v12, 2.0, -v44
	v_fma_f16 v2, v2, 2.0, -v46
	v_fma_f16 v11, v11, 2.0, -v8
	v_fma_f16 v7, v7, 2.0, -v48
	v_fma_f16 v13, v13, 2.0, -v17
	v_fma_f16 v9, v9, 2.0, -v47
	v_fma_f16 v14, v14, 2.0, -v45
	v_fma_f16 v16, v16, 2.0, -v18
	v_pack_b32_f16 v2, v2, v12
	v_pack_b32_f16 v7, v11, v7
	;; [unrolled: 1-line block ×8, first 2 shown]
	ds_write2_b32 v15, v7, v2 offset1:1
	ds_write2_b32 v15, v9, v11 offset0:2 offset1:3
	ds_write2_b32 v15, v8, v12 offset0:4 offset1:5
	;; [unrolled: 1-line block ×3, first 2 shown]
.LBB0_15:
	s_or_b32 exec_lo, exec_lo, s1
	v_lshlrev_b32_e32 v2, 1, v4
	s_waitcnt lgkmcnt(0)
	s_barrier
	buffer_gl0_inv
	v_add_nc_u32_e32 v44, 0, v2
	v_add3_u32 v17, 0, v29, v2
	v_add_nc_u32_e32 v18, v44, v29
	ds_read_u16 v2, v17
	ds_read_u16 v7, v18 offset:32
	ds_read_u16 v9, v18 offset:64
	;; [unrolled: 1-line block ×9, first 2 shown]
	s_waitcnt lgkmcnt(0)
	s_barrier
	buffer_gl0_inv
	s_and_saveexec_b32 s1, s0
	s_cbranch_execz .LBB0_17
; %bb.16:
	v_sub_f16_e32 v10, v5, v10
	v_fma_f16 v6, v6, 2.0, -v22
	v_fma_f16 v20, v20, 2.0, -v30
	;; [unrolled: 1-line block ×4, first 2 shown]
	v_add_f16_e32 v19, v10, v19
	v_sub_f16_e32 v6, v5, v6
	v_fma_f16 v10, v10, 2.0, -v19
	v_add_f16_e32 v22, v19, v43
	v_fma_f16 v5, v5, 2.0, -v6
	v_sub_f16_e32 v32, v10, v40
	v_add_f16_e32 v24, v6, v24
	v_add_f16_e32 v22, v39, v22
	v_mul_u32_u24_e32 v39, 30, v4
	v_sub_f16_e32 v20, v5, v20
	v_add_f16_e32 v25, v25, v32
	v_fma_f16 v6, v6, 2.0, -v24
	v_fma_f16 v19, v19, 2.0, -v22
	v_fmamk_f16 v34, v34, 0x3b64, v22
	v_fma_f16 v5, v5, 2.0, -v20
	v_fma_f16 v10, v10, 2.0, -v25
	v_sub_f16_e32 v38, v6, v38
	v_fmamk_f16 v36, v36, 0xb61f, v19
	v_fmac_f16_e32 v34, 0x361f, v28
	v_sub_f16_e32 v28, v5, v30
	v_fmamk_f16 v30, v33, 0xbb64, v10
	v_add_f16_e32 v32, v24, v41
	v_fmamk_f16 v23, v23, 0x361f, v25
	v_add_f16_e32 v33, v35, v38
	v_fmac_f16_e32 v36, 0x3b64, v31
	v_fmac_f16_e32 v30, 0x361f, v27
	v_add_f16_e32 v26, v20, v26
	v_add_f16_e32 v32, v37, v32
	v_fmac_f16_e32 v23, 0x3b64, v21
	v_fma_f16 v5, v5, 2.0, -v28
	v_fma_f16 v6, v6, 2.0, -v33
	v_fma_f16 v19, v19, 2.0, -v36
	v_fma_f16 v10, v10, 2.0, -v30
	v_fma_f16 v20, v20, 2.0, -v26
	v_fma_f16 v21, v24, 2.0, -v32
	v_fma_f16 v24, v25, 2.0, -v23
	v_fma_f16 v22, v22, 2.0, -v34
	v_add3_u32 v25, v44, v39, v29
	v_pack_b32_f16 v6, v6, v19
	v_pack_b32_f16 v5, v5, v10
	;; [unrolled: 1-line block ×8, first 2 shown]
	ds_write2_b32 v25, v5, v6 offset1:1
	ds_write2_b32 v25, v19, v10 offset0:2 offset1:3
	ds_write2_b32 v25, v20, v21 offset0:4 offset1:5
	ds_write2_b32 v25, v22, v23 offset0:6 offset1:7
.LBB0_17:
	s_or_b32 exec_lo, exec_lo, s1
	s_waitcnt lgkmcnt(0)
	s_barrier
	buffer_gl0_inv
	s_and_saveexec_b32 s0, vcc_lo
	s_cbranch_execz .LBB0_19
; %bb.18:
	v_mul_u32_u24_e32 v4, 9, v4
	v_lshlrev_b64 v[0:1], 2, v[0:1]
	v_lshlrev_b32_e32 v3, 2, v3
	v_lshlrev_b32_e32 v4, 2, v4
	s_clause 0x2
	global_load_dwordx4 v[19:22], v4, s[8:9]
	global_load_dwordx4 v[23:26], v4, s[8:9] offset:16
	global_load_dword v4, v4, s[8:9] offset:32
	ds_read_u16 v5, v18 offset:32
	ds_read_u16 v6, v18 offset:64
	;; [unrolled: 1-line block ×9, first 2 shown]
	v_add_co_u32 v0, vcc_lo, s2, v0
	ds_read_u16 v17, v17
	v_add_co_ci_u32_e32 v1, vcc_lo, s3, v1, vcc_lo
	v_add_co_u32 v0, vcc_lo, v0, v3
	v_add_co_ci_u32_e32 v1, vcc_lo, 0, v1, vcc_lo
	s_waitcnt vmcnt(2)
	v_mul_f16_sdwa v3, v9, v20 dst_sel:DWORD dst_unused:UNUSED_PAD src0_sel:DWORD src1_sel:WORD_1
	v_mul_f16_sdwa v32, v14, v22 dst_sel:DWORD dst_unused:UNUSED_PAD src0_sel:DWORD src1_sel:WORD_1
	s_waitcnt vmcnt(1)
	v_mul_f16_sdwa v33, v16, v26 dst_sel:DWORD dst_unused:UNUSED_PAD src0_sel:DWORD src1_sel:WORD_1
	v_mul_f16_sdwa v34, v15, v24 dst_sel:DWORD dst_unused:UNUSED_PAD src0_sel:DWORD src1_sel:WORD_1
	s_waitcnt lgkmcnt(2)
	v_mul_f16_sdwa v39, v31, v21 dst_sel:DWORD dst_unused:UNUSED_PAD src0_sel:DWORD src1_sel:WORD_1
	v_mul_f16_sdwa v40, v30, v23 dst_sel:DWORD dst_unused:UNUSED_PAD src0_sel:DWORD src1_sel:WORD_1
	s_waitcnt vmcnt(0) lgkmcnt(1)
	v_mul_f16_sdwa v41, v18, v4 dst_sel:DWORD dst_unused:UNUSED_PAD src0_sel:DWORD src1_sel:WORD_1
	v_mul_f16_sdwa v42, v28, v25 dst_sel:DWORD dst_unused:UNUSED_PAD src0_sel:DWORD src1_sel:WORD_1
	v_mul_f16_sdwa v46, v11, v23 dst_sel:DWORD dst_unused:UNUSED_PAD src0_sel:DWORD src1_sel:WORD_1
	v_mul_f16_sdwa v47, v12, v25 dst_sel:DWORD dst_unused:UNUSED_PAD src0_sel:DWORD src1_sel:WORD_1
	v_mul_f16_sdwa v44, v8, v21 dst_sel:DWORD dst_unused:UNUSED_PAD src0_sel:DWORD src1_sel:WORD_1
	v_mul_f16_sdwa v45, v13, v4 dst_sel:DWORD dst_unused:UNUSED_PAD src0_sel:DWORD src1_sel:WORD_1
	v_mul_f16_sdwa v35, v10, v22 dst_sel:DWORD dst_unused:UNUSED_PAD src0_sel:DWORD src1_sel:WORD_1
	v_mul_f16_sdwa v36, v29, v24 dst_sel:DWORD dst_unused:UNUSED_PAD src0_sel:DWORD src1_sel:WORD_1
	v_mul_f16_sdwa v37, v6, v20 dst_sel:DWORD dst_unused:UNUSED_PAD src0_sel:DWORD src1_sel:WORD_1
	v_mul_f16_sdwa v38, v27, v26 dst_sel:DWORD dst_unused:UNUSED_PAD src0_sel:DWORD src1_sel:WORD_1
	v_mul_f16_sdwa v43, v5, v19 dst_sel:DWORD dst_unused:UNUSED_PAD src0_sel:DWORD src1_sel:WORD_1
	v_mul_f16_sdwa v48, v7, v19 dst_sel:DWORD dst_unused:UNUSED_PAD src0_sel:DWORD src1_sel:WORD_1
	v_fmac_f16_e32 v3, v6, v20
	v_fmac_f16_e32 v32, v10, v22
	;; [unrolled: 1-line block ×4, first 2 shown]
	v_fma_f16 v8, v8, v21, -v39
	v_fma_f16 v11, v11, v23, -v40
	;; [unrolled: 1-line block ×4, first 2 shown]
	v_fmac_f16_e32 v46, v23, v30
	v_fmac_f16_e32 v47, v25, v28
	;; [unrolled: 1-line block ×4, first 2 shown]
	v_fma_f16 v6, v14, v22, -v35
	v_fma_f16 v10, v15, v24, -v36
	;; [unrolled: 1-line block ×5, first 2 shown]
	v_fmac_f16_e32 v48, v19, v5
	v_sub_f16_e32 v4, v3, v32
	v_sub_f16_e32 v5, v33, v34
	v_add_f16_e32 v18, v32, v34
	v_sub_f16_e32 v19, v8, v11
	v_sub_f16_e32 v20, v13, v12
	v_add_f16_e32 v21, v11, v12
	v_add_f16_e32 v28, v46, v47
	;; [unrolled: 1-line block ×3, first 2 shown]
	v_sub_f16_e32 v24, v44, v46
	v_sub_f16_e32 v25, v45, v47
	;; [unrolled: 1-line block ×4, first 2 shown]
	v_add_f16_e32 v40, v44, v45
	v_sub_f16_e32 v16, v9, v14
	v_sub_f16_e32 v22, v44, v45
	;; [unrolled: 1-line block ×4, first 2 shown]
	v_add_f16_e32 v31, v3, v33
	v_sub_f16_e32 v35, v11, v8
	v_sub_f16_e32 v36, v12, v13
	;; [unrolled: 1-line block ×4, first 2 shown]
	s_waitcnt lgkmcnt(0)
	v_add_f16_e32 v41, v3, v17
	v_add_f16_e32 v42, v44, v48
	v_sub_f16_e32 v43, v9, v6
	v_add_f16_e32 v49, v6, v10
	v_sub_f16_e32 v51, v6, v9
	v_add_f16_e32 v53, v9, v14
	v_add_f16_e32 v9, v2, v9
	;; [unrolled: 1-line block ×4, first 2 shown]
	v_fma_f16 v5, -0.5, v18, v17
	v_add_f16_e32 v18, v19, v20
	v_fma_f16 v19, -0.5, v21, v7
	v_fma_f16 v21, -0.5, v28, v48
	;; [unrolled: 1-line block ×3, first 2 shown]
	v_sub_f16_e32 v26, v11, v12
	v_add_f16_e32 v20, v24, v25
	v_add_f16_e32 v24, v29, v30
	v_fma_f16 v29, -0.5, v40, v48
	v_sub_f16_e32 v15, v6, v10
	v_sub_f16_e32 v50, v32, v34
	v_fma_f16 v17, -0.5, v31, v17
	v_add_f16_e32 v25, v35, v36
	v_add_f16_e32 v28, v38, v39
	;; [unrolled: 1-line block ×4, first 2 shown]
	v_fma_f16 v35, -0.5, v49, v2
	v_fma_f16 v2, -0.5, v53, v2
	v_add_f16_e32 v6, v9, v6
	v_add_f16_e32 v8, v11, v8
	v_fmamk_f16 v11, v22, 0xbb9c, v19
	v_fmamk_f16 v37, v27, 0x3b9c, v21
	;; [unrolled: 1-line block ×3, first 2 shown]
	v_fmac_f16_e32 v7, 0xbb9c, v23
	v_fmac_f16_e32 v21, 0xbb9c, v27
	;; [unrolled: 1-line block ×3, first 2 shown]
	v_fmamk_f16 v40, v26, 0xbb9c, v29
	v_fmac_f16_e32 v29, 0x3b9c, v26
	v_sub_f16_e32 v3, v3, v33
	v_fmamk_f16 v9, v16, 0x3b9c, v5
	v_fmac_f16_e32 v5, 0xbb9c, v16
	v_add_f16_e32 v30, v34, v30
	v_add_f16_e32 v31, v47, v31
	v_fmamk_f16 v41, v50, 0x3b9c, v2
	v_fmac_f16_e32 v2, 0xbb9c, v50
	v_add_f16_e32 v6, v6, v10
	v_add_f16_e32 v8, v12, v8
	v_fmac_f16_e32 v37, 0x38b4, v26
	v_fmac_f16_e32 v7, 0x38b4, v22
	;; [unrolled: 1-line block ×8, first 2 shown]
	v_sub_f16_e32 v44, v14, v10
	v_sub_f16_e32 v52, v10, v14
	v_fmamk_f16 v38, v15, 0xbb9c, v17
	v_fmac_f16_e32 v17, 0x3b9c, v15
	v_fmamk_f16 v34, v3, 0xbb9c, v35
	v_fmac_f16_e32 v35, 0x3b9c, v3
	v_fmac_f16_e32 v9, 0x38b4, v15
	;; [unrolled: 1-line block ×3, first 2 shown]
	v_add_f16_e32 v10, v33, v30
	v_add_f16_e32 v12, v45, v31
	v_fmac_f16_e32 v41, 0xb8b4, v3
	v_fmac_f16_e32 v2, 0x38b4, v3
	v_add_f16_e32 v3, v14, v6
	v_add_f16_e32 v6, v13, v8
	v_fmac_f16_e32 v37, 0x34f2, v20
	v_fmac_f16_e32 v7, 0x34f2, v25
	;; [unrolled: 1-line block ×8, first 2 shown]
	v_add_f16_e32 v32, v43, v44
	v_fmac_f16_e32 v17, 0xb8b4, v16
	v_fmac_f16_e32 v35, 0x38b4, v50
	;; [unrolled: 1-line block ×4, first 2 shown]
	v_sub_f16_e32 v4, v10, v12
	v_sub_f16_e32 v8, v3, v6
	v_add_f16_e32 v10, v10, v12
	v_add_f16_e32 v3, v3, v6
	v_mul_f16_e32 v6, 0x3a79, v37
	v_mul_f16_e32 v13, 0xbb9c, v7
	;; [unrolled: 1-line block ×4, first 2 shown]
	v_add_f16_e32 v36, v51, v52
	v_mul_f16_e32 v18, 0x3b9c, v29
	v_fmac_f16_e32 v38, 0x38b4, v16
	v_mul_f16_e32 v12, 0x34f2, v40
	v_mul_f16_e32 v16, 0x34f2, v39
	v_fmac_f16_e32 v34, 0xb8b4, v50
	v_mul_f16_e32 v15, 0x3a79, v11
	v_fmac_f16_e32 v17, 0x34f2, v24
	v_fmac_f16_e32 v35, 0x34f2, v32
	v_pack_b32_f16 v3, v3, v10
	v_fma_f16 v6, v11, 0xb8b4, -v6
	v_fmac_f16_e32 v13, 0x34f2, v29
	v_fmac_f16_e32 v14, 0x3a79, v21
	;; [unrolled: 1-line block ×4, first 2 shown]
	v_pack_b32_f16 v4, v8, v4
	v_fmac_f16_e32 v18, 0x34f2, v7
	v_fmac_f16_e32 v38, 0x34f2, v24
	;; [unrolled: 1-line block ×3, first 2 shown]
	v_fma_f16 v8, v39, 0xbb9c, -v12
	v_fma_f16 v11, v40, 0x3b9c, -v16
	v_fmac_f16_e32 v34, 0x34f2, v32
	v_fma_f16 v10, v37, 0x38b4, -v15
	global_store_dword v[0:1], v3, off
	global_store_dword v[0:1], v4, off offset:320
	v_sub_f16_e32 v3, v9, v6
	v_sub_f16_e32 v7, v17, v13
	;; [unrolled: 1-line block ×3, first 2 shown]
	v_add_f16_e32 v6, v9, v6
	v_add_f16_e32 v9, v17, v13
	;; [unrolled: 1-line block ×4, first 2 shown]
	v_sub_f16_e32 v19, v2, v18
	v_add_f16_e32 v2, v2, v18
	v_sub_f16_e32 v4, v38, v8
	v_sub_f16_e32 v16, v41, v11
	v_add_f16_e32 v8, v38, v8
	v_add_f16_e32 v11, v41, v11
	v_sub_f16_e32 v15, v34, v10
	v_add_f16_e32 v10, v34, v10
	v_sub_f16_e32 v14, v35, v20
	v_pack_b32_f16 v5, v13, v5
	v_pack_b32_f16 v2, v2, v9
	;; [unrolled: 1-line block ×8, first 2 shown]
	global_store_dword v[0:1], v5, off offset:64
	global_store_dword v[0:1], v2, off offset:128
	global_store_dword v[0:1], v8, off offset:192
	global_store_dword v[0:1], v6, off offset:256
	global_store_dword v[0:1], v9, off offset:384
	global_store_dword v[0:1], v7, off offset:448
	global_store_dword v[0:1], v4, off offset:512
	global_store_dword v[0:1], v3, off offset:576
.LBB0_19:
	s_endpgm
	.section	.rodata,"a",@progbits
	.p2align	6, 0x0
	.amdhsa_kernel fft_rtc_fwd_len160_factors_16_10_wgs_256_tpt_16_halfLds_half_ip_CI_unitstride_sbrr_dirReg
		.amdhsa_group_segment_fixed_size 0
		.amdhsa_private_segment_fixed_size 0
		.amdhsa_kernarg_size 88
		.amdhsa_user_sgpr_count 6
		.amdhsa_user_sgpr_private_segment_buffer 1
		.amdhsa_user_sgpr_dispatch_ptr 0
		.amdhsa_user_sgpr_queue_ptr 0
		.amdhsa_user_sgpr_kernarg_segment_ptr 1
		.amdhsa_user_sgpr_dispatch_id 0
		.amdhsa_user_sgpr_flat_scratch_init 0
		.amdhsa_user_sgpr_private_segment_size 0
		.amdhsa_wavefront_size32 1
		.amdhsa_uses_dynamic_stack 0
		.amdhsa_system_sgpr_private_segment_wavefront_offset 0
		.amdhsa_system_sgpr_workgroup_id_x 1
		.amdhsa_system_sgpr_workgroup_id_y 0
		.amdhsa_system_sgpr_workgroup_id_z 0
		.amdhsa_system_sgpr_workgroup_info 0
		.amdhsa_system_vgpr_workitem_id 0
		.amdhsa_next_free_vgpr 54
		.amdhsa_next_free_sgpr 21
		.amdhsa_reserve_vcc 1
		.amdhsa_reserve_flat_scratch 0
		.amdhsa_float_round_mode_32 0
		.amdhsa_float_round_mode_16_64 0
		.amdhsa_float_denorm_mode_32 3
		.amdhsa_float_denorm_mode_16_64 3
		.amdhsa_dx10_clamp 1
		.amdhsa_ieee_mode 1
		.amdhsa_fp16_overflow 0
		.amdhsa_workgroup_processor_mode 1
		.amdhsa_memory_ordered 1
		.amdhsa_forward_progress 0
		.amdhsa_shared_vgpr_count 0
		.amdhsa_exception_fp_ieee_invalid_op 0
		.amdhsa_exception_fp_denorm_src 0
		.amdhsa_exception_fp_ieee_div_zero 0
		.amdhsa_exception_fp_ieee_overflow 0
		.amdhsa_exception_fp_ieee_underflow 0
		.amdhsa_exception_fp_ieee_inexact 0
		.amdhsa_exception_int_div_zero 0
	.end_amdhsa_kernel
	.text
.Lfunc_end0:
	.size	fft_rtc_fwd_len160_factors_16_10_wgs_256_tpt_16_halfLds_half_ip_CI_unitstride_sbrr_dirReg, .Lfunc_end0-fft_rtc_fwd_len160_factors_16_10_wgs_256_tpt_16_halfLds_half_ip_CI_unitstride_sbrr_dirReg
                                        ; -- End function
	.section	.AMDGPU.csdata,"",@progbits
; Kernel info:
; codeLenInByte = 4488
; NumSgprs: 23
; NumVgprs: 54
; ScratchSize: 0
; MemoryBound: 0
; FloatMode: 240
; IeeeMode: 1
; LDSByteSize: 0 bytes/workgroup (compile time only)
; SGPRBlocks: 2
; VGPRBlocks: 6
; NumSGPRsForWavesPerEU: 23
; NumVGPRsForWavesPerEU: 54
; Occupancy: 16
; WaveLimiterHint : 1
; COMPUTE_PGM_RSRC2:SCRATCH_EN: 0
; COMPUTE_PGM_RSRC2:USER_SGPR: 6
; COMPUTE_PGM_RSRC2:TRAP_HANDLER: 0
; COMPUTE_PGM_RSRC2:TGID_X_EN: 1
; COMPUTE_PGM_RSRC2:TGID_Y_EN: 0
; COMPUTE_PGM_RSRC2:TGID_Z_EN: 0
; COMPUTE_PGM_RSRC2:TIDIG_COMP_CNT: 0
	.text
	.p2alignl 6, 3214868480
	.fill 48, 4, 3214868480
	.type	__hip_cuid_81c32fc5cc9428b5,@object ; @__hip_cuid_81c32fc5cc9428b5
	.section	.bss,"aw",@nobits
	.globl	__hip_cuid_81c32fc5cc9428b5
__hip_cuid_81c32fc5cc9428b5:
	.byte	0                               ; 0x0
	.size	__hip_cuid_81c32fc5cc9428b5, 1

	.ident	"AMD clang version 19.0.0git (https://github.com/RadeonOpenCompute/llvm-project roc-6.4.0 25133 c7fe45cf4b819c5991fe208aaa96edf142730f1d)"
	.section	".note.GNU-stack","",@progbits
	.addrsig
	.addrsig_sym __hip_cuid_81c32fc5cc9428b5
	.amdgpu_metadata
---
amdhsa.kernels:
  - .args:
      - .actual_access:  read_only
        .address_space:  global
        .offset:         0
        .size:           8
        .value_kind:     global_buffer
      - .offset:         8
        .size:           8
        .value_kind:     by_value
      - .actual_access:  read_only
        .address_space:  global
        .offset:         16
        .size:           8
        .value_kind:     global_buffer
      - .actual_access:  read_only
        .address_space:  global
        .offset:         24
        .size:           8
        .value_kind:     global_buffer
      - .offset:         32
        .size:           8
        .value_kind:     by_value
      - .actual_access:  read_only
        .address_space:  global
        .offset:         40
        .size:           8
        .value_kind:     global_buffer
      - .actual_access:  read_only
        .address_space:  global
        .offset:         48
        .size:           8
        .value_kind:     global_buffer
      - .offset:         56
        .size:           4
        .value_kind:     by_value
      - .actual_access:  read_only
        .address_space:  global
        .offset:         64
        .size:           8
        .value_kind:     global_buffer
      - .actual_access:  read_only
        .address_space:  global
        .offset:         72
        .size:           8
        .value_kind:     global_buffer
      - .address_space:  global
        .offset:         80
        .size:           8
        .value_kind:     global_buffer
    .group_segment_fixed_size: 0
    .kernarg_segment_align: 8
    .kernarg_segment_size: 88
    .language:       OpenCL C
    .language_version:
      - 2
      - 0
    .max_flat_workgroup_size: 256
    .name:           fft_rtc_fwd_len160_factors_16_10_wgs_256_tpt_16_halfLds_half_ip_CI_unitstride_sbrr_dirReg
    .private_segment_fixed_size: 0
    .sgpr_count:     23
    .sgpr_spill_count: 0
    .symbol:         fft_rtc_fwd_len160_factors_16_10_wgs_256_tpt_16_halfLds_half_ip_CI_unitstride_sbrr_dirReg.kd
    .uniform_work_group_size: 1
    .uses_dynamic_stack: false
    .vgpr_count:     54
    .vgpr_spill_count: 0
    .wavefront_size: 32
    .workgroup_processor_mode: 1
amdhsa.target:   amdgcn-amd-amdhsa--gfx1030
amdhsa.version:
  - 1
  - 2
...

	.end_amdgpu_metadata
